;; amdgpu-corpus repo=ROCm/rocFFT kind=compiled arch=gfx1201 opt=O3
	.text
	.amdgcn_target "amdgcn-amd-amdhsa--gfx1201"
	.amdhsa_code_object_version 6
	.protected	fft_rtc_back_len84_factors_7_6_2_wgs_252_tpt_14_dim1_sp_op_CI_CI_unitstride_sbrr_R2C_dirReg ; -- Begin function fft_rtc_back_len84_factors_7_6_2_wgs_252_tpt_14_dim1_sp_op_CI_CI_unitstride_sbrr_R2C_dirReg
	.globl	fft_rtc_back_len84_factors_7_6_2_wgs_252_tpt_14_dim1_sp_op_CI_CI_unitstride_sbrr_R2C_dirReg
	.p2align	8
	.type	fft_rtc_back_len84_factors_7_6_2_wgs_252_tpt_14_dim1_sp_op_CI_CI_unitstride_sbrr_R2C_dirReg,@function
fft_rtc_back_len84_factors_7_6_2_wgs_252_tpt_14_dim1_sp_op_CI_CI_unitstride_sbrr_R2C_dirReg: ; @fft_rtc_back_len84_factors_7_6_2_wgs_252_tpt_14_dim1_sp_op_CI_CI_unitstride_sbrr_R2C_dirReg
; %bb.0:
	v_mul_u32_u24_e32 v1, 0x124a, v0
	s_load_b64 s[2:3], s[0:1], 0x20
                                        ; implicit-def: $vgpr19
                                        ; implicit-def: $vgpr12
	s_delay_alu instid0(VALU_DEP_1) | instskip(NEXT) | instid1(VALU_DEP_1)
	v_lshrrev_b32_e32 v1, 16, v1
	v_mad_co_u64_u32 v[14:15], null, ttmp9, 18, v[1:2]
	v_mov_b32_e32 v15, 0
	s_delay_alu instid0(VALU_DEP_2) | instskip(SKIP_1) | instid1(VALU_DEP_2)
	v_mul_hi_u32 v2, 0x38e38e39, v14
	s_wait_kmcnt 0x0
	v_cmp_gt_u64_e32 vcc_lo, s[2:3], v[14:15]
	v_cmp_le_u64_e64 s2, s[2:3], v[14:15]
	s_delay_alu instid0(VALU_DEP_3) | instskip(NEXT) | instid1(VALU_DEP_1)
	v_lshrrev_b32_e32 v2, 2, v2
	v_mul_lo_u32 v2, v2, 18
	s_delay_alu instid0(VALU_DEP_1) | instskip(NEXT) | instid1(VALU_DEP_4)
	v_sub_nc_u32_e32 v2, v14, v2
	s_and_saveexec_b32 s3, s2
	s_wait_alu 0xfffe
	s_xor_b32 s2, exec_lo, s3
; %bb.1:
	v_and_b32_e32 v1, 0xffff, v0
	s_delay_alu instid0(VALU_DEP_1) | instskip(NEXT) | instid1(VALU_DEP_1)
	v_mul_u32_u24_e32 v1, 0x124a, v1
	v_lshrrev_b32_e32 v1, 16, v1
	s_delay_alu instid0(VALU_DEP_1) | instskip(NEXT) | instid1(VALU_DEP_1)
	v_mul_lo_u16 v1, v1, 14
	v_sub_nc_u16 v19, v0, v1
                                        ; implicit-def: $vgpr1
                                        ; implicit-def: $vgpr0
	s_delay_alu instid0(VALU_DEP_1)
	v_and_b32_e32 v12, 0xffff, v19
; %bb.2:
	s_wait_alu 0xfffe
	s_or_saveexec_b32 s3, s2
	s_load_b64 s[4:5], s[0:1], 0x0
	v_mul_u32_u24_e32 v2, 0x55, v2
	s_delay_alu instid0(VALU_DEP_1)
	v_lshlrev_b32_e32 v22, 3, v2
	s_xor_b32 exec_lo, exec_lo, s3
	s_cbranch_execz .LBB0_4
; %bb.3:
	s_clause 0x1
	s_load_b64 s[6:7], s[0:1], 0x10
	s_load_b64 s[8:9], s[0:1], 0x50
	v_mul_lo_u16 v1, v1, 14
	s_delay_alu instid0(VALU_DEP_1) | instskip(NEXT) | instid1(VALU_DEP_1)
	v_sub_nc_u16 v19, v0, v1
	v_and_b32_e32 v12, 0xffff, v19
	s_delay_alu instid0(VALU_DEP_1) | instskip(SKIP_4) | instid1(VALU_DEP_1)
	v_lshlrev_b32_e32 v13, 3, v12
	s_wait_kmcnt 0x0
	s_load_b64 s[6:7], s[6:7], 0x8
	s_wait_kmcnt 0x0
	v_mad_co_u64_u32 v[2:3], null, s6, v14, 0
	v_mad_co_u64_u32 v[3:4], null, s7, v14, v[3:4]
	s_delay_alu instid0(VALU_DEP_1) | instskip(NEXT) | instid1(VALU_DEP_1)
	v_lshlrev_b64_e32 v[0:1], 3, v[2:3]
	v_add_co_u32 v0, s2, s8, v0
	s_wait_alu 0xf1ff
	s_delay_alu instid0(VALU_DEP_2) | instskip(NEXT) | instid1(VALU_DEP_2)
	v_add_co_ci_u32_e64 v1, s2, s9, v1, s2
	v_add_co_u32 v0, s2, v0, v13
	s_wait_alu 0xf1ff
	s_delay_alu instid0(VALU_DEP_2)
	v_add_co_ci_u32_e64 v1, s2, 0, v1, s2
	v_add3_u32 v13, 0, v22, v13
	s_clause 0x5
	global_load_b64 v[2:3], v[0:1], off
	global_load_b64 v[4:5], v[0:1], off offset:112
	global_load_b64 v[6:7], v[0:1], off offset:224
	;; [unrolled: 1-line block ×5, first 2 shown]
	s_wait_loadcnt 0x4
	ds_store_2addr_b64 v13, v[2:3], v[4:5] offset1:14
	s_wait_loadcnt 0x2
	ds_store_2addr_b64 v13, v[6:7], v[8:9] offset0:28 offset1:42
	s_wait_loadcnt 0x0
	ds_store_2addr_b64 v13, v[10:11], v[0:1] offset0:56 offset1:70
.LBB0_4:
	s_or_b32 exec_lo, exec_lo, s3
	v_lshlrev_b32_e32 v20, 3, v12
	v_add_nc_u32_e32 v17, 0, v22
	global_wb scope:SCOPE_SE
	s_wait_dscnt 0x0
	s_wait_kmcnt 0x0
	s_barrier_signal -1
	s_barrier_wait -1
	v_add_nc_u32_e32 v13, 0, v20
	v_add_nc_u32_e32 v18, v17, v20
	global_inv scope:SCOPE_SE
	s_load_b64 s[6:7], s[0:1], 0x18
	s_mov_b32 s3, exec_lo
	v_add_nc_u32_e32 v21, v13, v22
	ds_load_b64 v[15:16], v18
	ds_load_2addr_b64 v[0:3], v21 offset0:12 offset1:24
	ds_load_2addr_b64 v[8:11], v21 offset0:36 offset1:48
	;; [unrolled: 1-line block ×3, first 2 shown]
	global_wb scope:SCOPE_SE
	s_wait_dscnt 0x0
	s_wait_kmcnt 0x0
	s_barrier_signal -1
	s_barrier_wait -1
	global_inv scope:SCOPE_SE
	v_cmpx_gt_u16_e32 12, v19
	s_cbranch_execz .LBB0_6
; %bb.5:
	v_dual_sub_f32 v23, v10, v8 :: v_dual_add_f32 v26, v1, v7
	v_dual_sub_f32 v24, v2, v4 :: v_dual_sub_f32 v25, v0, v6
	v_add_f32_e32 v27, v9, v11
	v_dual_add_f32 v29, v3, v5 :: v_dual_add_f32 v0, v0, v6
	s_delay_alu instid0(VALU_DEP_3) | instskip(NEXT) | instid1(VALU_DEP_4)
	v_sub_f32_e32 v28, v23, v24
	v_dual_sub_f32 v6, v25, v23 :: v_dual_add_f32 v23, v23, v24
	v_add_f32_e32 v8, v8, v10
	v_sub_f32_e32 v10, v26, v27
	s_delay_alu instid0(VALU_DEP_4) | instskip(NEXT) | instid1(VALU_DEP_4)
	v_dual_mul_f32 v28, 0x3f08b237, v28 :: v_dual_sub_f32 v9, v11, v9
	v_dual_add_f32 v23, v23, v25 :: v_dual_add_f32 v30, v29, v26
	v_sub_f32_e32 v5, v3, v5
	s_delay_alu instid0(VALU_DEP_3)
	v_fmamk_f32 v31, v6, 0xbeae86e6, v28
	v_sub_f32_e32 v7, v1, v7
	v_sub_f32_e32 v26, v29, v26
	v_add_f32_e32 v30, v27, v30
	v_sub_f32_e32 v27, v27, v29
	v_fmac_f32_e32 v31, 0xbee1c552, v23
	v_dual_sub_f32 v33, v0, v8 :: v_dual_mul_f32 v10, 0x3f4a47b2, v10
	v_add_f32_e32 v2, v2, v4
	v_add_f32_e32 v4, v16, v30
	v_mul_f32_e32 v32, 0x3d64c772, v27
	s_delay_alu instid0(VALU_DEP_4) | instskip(NEXT) | instid1(VALU_DEP_4)
	v_mul_f32_e32 v11, 0x3f4a47b2, v33
	v_dual_fmamk_f32 v27, v27, 0x3d64c772, v10 :: v_dual_add_f32 v16, v2, v0
	s_delay_alu instid0(VALU_DEP_4) | instskip(SKIP_1) | instid1(VALU_DEP_3)
	v_dual_fmamk_f32 v30, v30, 0xbf955555, v4 :: v_dual_sub_f32 v1, v9, v5
	v_sub_f32_e32 v33, v7, v9
	v_dual_add_f32 v9, v9, v5 :: v_dual_add_f32 v16, v8, v16
	v_sub_f32_e32 v8, v8, v2
	v_sub_f32_e32 v0, v2, v0
	s_delay_alu instid0(VALU_DEP_3) | instskip(SKIP_1) | instid1(VALU_DEP_4)
	v_add_f32_e32 v3, v15, v16
	v_add_f32_e32 v15, v27, v30
	v_dual_fmamk_f32 v27, v8, 0x3d64c772, v11 :: v_dual_mul_f32 v8, 0x3d64c772, v8
	s_delay_alu instid0(VALU_DEP_3) | instskip(SKIP_1) | instid1(VALU_DEP_4)
	v_fmamk_f32 v16, v16, 0xbf955555, v3
	v_sub_f32_e32 v24, v24, v25
	v_dual_mul_f32 v34, 0x3f08b237, v1 :: v_dual_add_f32 v1, v31, v15
	s_delay_alu instid0(VALU_DEP_3) | instskip(NEXT) | instid1(VALU_DEP_3)
	v_dual_add_f32 v2, v9, v7 :: v_dual_add_f32 v25, v27, v16
	v_mul_f32_e32 v35, 0xbf5ff5aa, v24
	s_delay_alu instid0(VALU_DEP_3) | instskip(SKIP_3) | instid1(VALU_DEP_3)
	v_fmamk_f32 v27, v33, 0xbeae86e6, v34
	v_fma_f32 v9, 0xbf3bfb3b, v26, -v10
	v_fma_f32 v10, 0xbf3bfb3b, v0, -v11
	;; [unrolled: 1-line block ×3, first 2 shown]
	v_add_f32_e32 v29, v9, v30
	v_sub_f32_e32 v5, v5, v7
	v_fma_f32 v7, 0x3eae86e6, v6, -v35
	v_fma_f32 v9, 0xbf5ff5aa, v24, -v28
	v_add_f32_e32 v0, v0, v16
	v_sub_f32_e32 v24, v15, v31
	v_mul_f32_e32 v6, 0xbf5ff5aa, v5
	s_delay_alu instid0(VALU_DEP_4) | instskip(NEXT) | instid1(VALU_DEP_2)
	v_fmac_f32_e32 v9, 0xbee1c552, v23
	v_fma_f32 v11, 0x3eae86e6, v33, -v6
	v_fma_f32 v6, 0x3f3bfb3b, v26, -v32
	v_add_f32_e32 v33, v10, v16
	v_fmac_f32_e32 v7, 0xbee1c552, v23
	v_fmac_f32_e32 v27, 0xbee1c552, v2
	s_delay_alu instid0(VALU_DEP_1) | instskip(NEXT) | instid1(VALU_DEP_1)
	v_dual_add_f32 v10, v6, v30 :: v_dual_add_f32 v23, v25, v27
	v_sub_f32_e32 v8, v10, v9
	s_delay_alu instid0(VALU_DEP_4) | instskip(SKIP_1) | instid1(VALU_DEP_1)
	v_add_f32_e32 v6, v7, v29
	v_fma_f32 v26, 0xbf5ff5aa, v5, -v34
	v_fmac_f32_e32 v26, 0xbee1c552, v2
	v_dual_fmac_f32 v11, 0xbee1c552, v2 :: v_dual_sub_f32 v16, v29, v7
	v_mul_u32_u24_e32 v2, 48, v12
	v_add_f32_e32 v10, v9, v10
	s_delay_alu instid0(VALU_DEP_4) | instskip(NEXT) | instid1(VALU_DEP_4)
	v_sub_f32_e32 v9, v0, v26
	v_add_f32_e32 v15, v11, v33
	v_sub_f32_e32 v5, v33, v11
	v_add3_u32 v2, v13, v2, v22
	v_dual_add_f32 v7, v26, v0 :: v_dual_sub_f32 v0, v25, v27
	ds_store_2addr_b64 v2, v[3:4], v[23:24] offset1:1
	ds_store_2addr_b64 v2, v[15:16], v[9:10] offset0:2 offset1:3
	ds_store_2addr_b64 v2, v[7:8], v[5:6] offset0:4 offset1:5
	ds_store_b64 v2, v[0:1] offset:48
.LBB0_6:
	s_wait_alu 0xfffe
	s_or_b32 exec_lo, exec_lo, s3
	v_dual_mov_b32 v1, 0 :: v_dual_add_nc_u32 v0, -7, v12
	v_cmp_gt_u16_e64 s2, 7, v19
	s_load_b64 s[6:7], s[6:7], 0x8
	global_wb scope:SCOPE_SE
	s_wait_dscnt 0x0
	s_wait_kmcnt 0x0
	s_barrier_signal -1
	s_barrier_wait -1
	v_cndmask_b32_e64 v33, v0, v12, s2
	global_inv scope:SCOPE_SE
	v_mov_b32_e32 v13, v1
	v_mul_i32_i24_e32 v0, 5, v33
	s_delay_alu instid0(VALU_DEP_1) | instskip(NEXT) | instid1(VALU_DEP_1)
	v_lshlrev_b64_e32 v[2:3], 3, v[0:1]
	v_add_co_u32 v2, s2, s4, v2
	s_wait_alu 0xf1ff
	s_delay_alu instid0(VALU_DEP_2)
	v_add_co_ci_u32_e64 v3, s2, s5, v3, s2
	v_cmp_lt_u16_e64 s2, 6, v19
	s_clause 0x2
	global_load_b128 v[4:7], v[2:3], off
	global_load_b128 v[8:11], v[2:3], off offset:16
	global_load_b64 v[15:16], v[2:3], off offset:32
	v_and_b32_e32 v2, 0xffff, v19
	ds_load_2addr_b64 v[23:26], v21 offset0:14 offset1:28
	ds_load_2addr_b64 v[27:30], v21 offset0:42 offset1:56
	s_wait_alu 0xf1ff
	v_cndmask_b32_e64 v0, 0, 0x150, s2
	ds_load_b64 v[31:32], v21 offset:560
	v_lshlrev_b32_e32 v36, 3, v33
	ds_load_b64 v[33:34], v18
	v_lshlrev_b32_e32 v3, 3, v2
	v_add_nc_u32_e32 v35, 0, v0
	v_lshlrev_b64_e32 v[0:1], 3, v[12:13]
	global_wb scope:SCOPE_SE
	s_wait_loadcnt_dscnt 0x0
	s_barrier_signal -1
	s_barrier_wait -1
	global_inv scope:SCOPE_SE
	v_mul_f32_e32 v13, v5, v24
	v_add3_u32 v2, v35, v36, v22
	v_dual_mul_f32 v22, v7, v26 :: v_dual_mul_f32 v5, v5, v23
	v_dual_mul_f32 v38, v11, v30 :: v_dual_mul_f32 v37, v9, v28
	s_delay_alu instid0(VALU_DEP_2)
	v_dual_mul_f32 v9, v9, v27 :: v_dual_fmac_f32 v22, v6, v25
	v_mul_f32_e32 v7, v7, v25
	v_fmac_f32_e32 v13, v4, v23
	v_fma_f32 v23, v4, v24, -v5
	v_dual_fmac_f32 v37, v8, v27 :: v_dual_fmac_f32 v38, v10, v29
	v_fma_f32 v5, v8, v28, -v9
	v_add_f32_e32 v8, v33, v22
	v_fma_f32 v4, v6, v26, -v7
	v_mul_f32_e32 v11, v11, v29
	v_add_co_u32 v35, s2, s4, v0
	s_wait_alu 0xf1ff
	v_add_co_ci_u32_e64 v36, s2, s5, v1, s2
	s_delay_alu instid0(VALU_DEP_3) | instskip(SKIP_3) | instid1(VALU_DEP_4)
	v_fma_f32 v6, v10, v30, -v11
	v_add_f32_e32 v11, v34, v4
	v_cmp_ne_u16_e64 s2, 0, v19
	v_add_f32_e32 v8, v8, v38
	v_sub_f32_e32 v10, v4, v6
	v_add_f32_e32 v4, v4, v6
	s_delay_alu instid0(VALU_DEP_1) | instskip(SKIP_2) | instid1(VALU_DEP_1)
	v_fmac_f32_e32 v34, -0.5, v4
	v_mul_f32_e32 v39, v16, v32
	v_mul_f32_e32 v16, v16, v31
	v_fma_f32 v7, v15, v32, -v16
	s_delay_alu instid0(VALU_DEP_3) | instskip(SKIP_1) | instid1(VALU_DEP_3)
	v_dual_add_f32 v16, v13, v37 :: v_dual_fmac_f32 v39, v15, v31
	v_add_f32_e32 v9, v22, v38
	v_dual_sub_f32 v15, v22, v38 :: v_dual_sub_f32 v24, v5, v7
	s_delay_alu instid0(VALU_DEP_3) | instskip(SKIP_1) | instid1(VALU_DEP_4)
	v_dual_add_f32 v25, v23, v5 :: v_dual_sub_f32 v26, v37, v39
	v_add_f32_e32 v22, v37, v39
	v_fma_f32 v27, -0.5, v9, v33
	v_add_f32_e32 v5, v5, v7
	v_dual_add_f32 v9, v11, v6 :: v_dual_add_f32 v6, v16, v39
	s_delay_alu instid0(VALU_DEP_4) | instskip(NEXT) | instid1(VALU_DEP_4)
	v_fmac_f32_e32 v13, -0.5, v22
	v_fmamk_f32 v16, v10, 0xbf5db3d7, v27
	s_delay_alu instid0(VALU_DEP_4) | instskip(NEXT) | instid1(VALU_DEP_4)
	v_fmac_f32_e32 v23, -0.5, v5
	v_dual_add_f32 v7, v25, v7 :: v_dual_add_f32 v4, v8, v6
	v_dual_fmamk_f32 v25, v15, 0x3f5db3d7, v34 :: v_dual_sub_f32 v6, v8, v6
	s_delay_alu instid0(VALU_DEP_3) | instskip(SKIP_3) | instid1(VALU_DEP_4)
	v_fmamk_f32 v11, v26, 0x3f5db3d7, v23
	v_fmac_f32_e32 v27, 0x3f5db3d7, v10
	v_fmac_f32_e32 v34, 0xbf5db3d7, v15
	v_fmamk_f32 v10, v24, 0xbf5db3d7, v13
	v_dual_fmac_f32 v13, 0x3f5db3d7, v24 :: v_dual_mul_f32 v24, 0.5, v11
	s_delay_alu instid0(VALU_DEP_1) | instskip(SKIP_1) | instid1(VALU_DEP_1)
	v_fmac_f32_e32 v24, 0x3f5db3d7, v10
	v_mul_f32_e32 v15, 0xbf5db3d7, v11
	v_fmac_f32_e32 v15, 0.5, v10
	s_delay_alu instid0(VALU_DEP_1) | instskip(NEXT) | instid1(VALU_DEP_1)
	v_dual_fmac_f32 v23, 0xbf5db3d7, v26 :: v_dual_add_f32 v8, v16, v15
	v_mul_f32_e32 v22, 0xbf5db3d7, v23
	v_mul_f32_e32 v23, -0.5, v23
	v_dual_sub_f32 v15, v16, v15 :: v_dual_sub_f32 v16, v25, v24
	s_delay_alu instid0(VALU_DEP_3) | instskip(SKIP_1) | instid1(VALU_DEP_2)
	v_dual_fmac_f32 v22, -0.5, v13 :: v_dual_add_f32 v5, v9, v7
	v_sub_f32_e32 v7, v9, v7
	v_dual_add_f32 v9, v25, v24 :: v_dual_add_f32 v10, v27, v22
	v_dual_fmac_f32 v23, 0x3f5db3d7, v13 :: v_dual_sub_f32 v22, v27, v22
	s_delay_alu instid0(VALU_DEP_1)
	v_add_f32_e32 v11, v34, v23
	v_sub_f32_e32 v23, v34, v23
	ds_store_2addr_b64 v2, v[4:5], v[8:9] offset1:7
	ds_store_2addr_b64 v2, v[10:11], v[6:7] offset0:14 offset1:21
	ds_store_2addr_b64 v2, v[15:16], v[22:23] offset0:28 offset1:35
	global_wb scope:SCOPE_SE
	s_wait_dscnt 0x0
	s_barrier_signal -1
	s_barrier_wait -1
	global_inv scope:SCOPE_SE
	s_clause 0x2
	global_load_b64 v[15:16], v3, s[4:5] offset:280
	global_load_b64 v[22:23], v[35:36], off offset:392
	global_load_b64 v[24:25], v[35:36], off offset:504
	ds_load_2addr_b64 v[4:7], v21 offset0:42 offset1:56
	ds_load_b64 v[26:27], v21 offset:560
	ds_load_b64 v[28:29], v18
	ds_load_2addr_b64 v[8:11], v21 offset0:14 offset1:28
	global_wb scope:SCOPE_SE
	s_wait_loadcnt_dscnt 0x0
	s_barrier_signal -1
	s_barrier_wait -1
	global_inv scope:SCOPE_SE
	v_mul_f32_e32 v2, v16, v5
	v_dual_mul_f32 v13, v16, v4 :: v_dual_mul_f32 v16, v23, v7
	v_mul_f32_e32 v30, v25, v27
	s_delay_alu instid0(VALU_DEP_3) | instskip(NEXT) | instid1(VALU_DEP_3)
	v_dual_mul_f32 v25, v25, v26 :: v_dual_fmac_f32 v2, v15, v4
	v_fma_f32 v5, v15, v5, -v13
	s_delay_alu instid0(VALU_DEP_4)
	v_fmac_f32_e32 v16, v22, v6
	v_mul_f32_e32 v23, v23, v6
	v_fmac_f32_e32 v30, v24, v26
	v_fma_f32 v13, v24, v27, -v25
	v_sub_f32_e32 v4, v28, v2
	v_sub_f32_e32 v6, v8, v16
	v_fma_f32 v7, v22, v7, -v23
	v_sub_f32_e32 v5, v29, v5
	v_dual_sub_f32 v15, v10, v30 :: v_dual_sub_f32 v16, v11, v13
	v_fma_f32 v22, v28, 2.0, -v4
	s_delay_alu instid0(VALU_DEP_4) | instskip(NEXT) | instid1(VALU_DEP_4)
	v_sub_f32_e32 v7, v9, v7
	v_fma_f32 v23, v29, 2.0, -v5
	v_fma_f32 v8, v8, 2.0, -v6
	;; [unrolled: 1-line block ×5, first 2 shown]
	ds_store_2addr_b64 v21, v[6:7], v[15:16] offset0:56 offset1:70
	ds_store_2addr_b64 v21, v[22:23], v[8:9] offset1:14
	ds_store_2addr_b64 v21, v[10:11], v[4:5] offset0:28 offset1:42
	global_wb scope:SCOPE_SE
	s_wait_dscnt 0x0
	s_barrier_signal -1
	s_barrier_wait -1
	global_inv scope:SCOPE_SE
	ds_load_b64 v[4:5], v18
	v_sub_nc_u32_e32 v6, v17, v20
                                        ; implicit-def: $vgpr2
                                        ; implicit-def: $vgpr7
                                        ; implicit-def: $vgpr8
	s_and_saveexec_b32 s3, s2
	s_wait_alu 0xfffe
	s_xor_b32 s2, exec_lo, s3
	s_cbranch_execz .LBB0_8
; %bb.7:
	v_add_co_u32 v2, s3, s4, v3
	s_wait_alu 0xf1ff
	v_add_co_ci_u32_e64 v3, null, s5, 0, s3
	global_load_b64 v[9:10], v[2:3], off offset:616
	ds_load_b64 v[2:3], v6 offset:672
	s_wait_dscnt 0x0
	v_dual_sub_f32 v7, v4, v2 :: v_dual_add_f32 v8, v3, v5
	v_dual_sub_f32 v3, v5, v3 :: v_dual_add_f32 v2, v2, v4
	s_delay_alu instid0(VALU_DEP_2) | instskip(SKIP_1) | instid1(VALU_DEP_1)
	v_dual_mul_f32 v5, 0.5, v7 :: v_dual_mul_f32 v4, 0.5, v8
	s_wait_loadcnt 0x0
	v_dual_mul_f32 v3, 0.5, v3 :: v_dual_mul_f32 v8, v10, v5
	s_delay_alu instid0(VALU_DEP_1) | instskip(SKIP_1) | instid1(VALU_DEP_3)
	v_fma_f32 v11, v4, v10, v3
	v_fma_f32 v3, v4, v10, -v3
	v_fma_f32 v7, 0.5, v2, v8
	v_fma_f32 v2, v2, 0.5, -v8
	s_delay_alu instid0(VALU_DEP_4) | instskip(NEXT) | instid1(VALU_DEP_4)
	v_fma_f32 v8, -v9, v5, v11
	v_fma_f32 v3, -v9, v5, v3
	s_delay_alu instid0(VALU_DEP_4) | instskip(NEXT) | instid1(VALU_DEP_4)
	v_fmac_f32_e32 v7, v9, v4
	v_fma_f32 v2, -v9, v4, v2
                                        ; implicit-def: $vgpr4_vgpr5
.LBB0_8:
	s_wait_alu 0xfffe
	s_and_not1_saveexec_b32 s2, s2
	s_cbranch_execz .LBB0_10
; %bb.9:
	ds_load_b32 v3, v17 offset:340
	s_wait_dscnt 0x1
	v_dual_add_f32 v7, v4, v5 :: v_dual_mov_b32 v8, 0
	v_sub_f32_e32 v2, v4, v5
	s_wait_dscnt 0x0
	v_xor_b32_e32 v4, 0x80000000, v3
	v_mov_b32_e32 v3, 0
	ds_store_b32 v17, v4 offset:340
.LBB0_10:
	s_wait_alu 0xfffe
	s_or_b32 exec_lo, exec_lo, s2
	s_add_nc_u64 s[2:3], s[4:5], 0x268
	s_wait_alu 0xfffe
	v_add_co_u32 v0, s2, s2, v0
	s_wait_alu 0xf1ff
	v_add_co_ci_u32_e64 v1, s2, s3, v1, s2
	s_wait_dscnt 0x0
	s_clause 0x1
	global_load_b64 v[4:5], v[0:1], off offset:112
	global_load_b64 v[0:1], v[0:1], off offset:224
	ds_store_2addr_b32 v18, v7, v8 offset1:1
	ds_store_b64 v6, v[2:3] offset:672
	ds_load_b64 v[2:3], v18 offset:112
	ds_load_b64 v[7:8], v6 offset:560
	s_wait_dscnt 0x0
	v_dual_sub_f32 v9, v2, v7 :: v_dual_add_f32 v10, v3, v8
	v_dual_sub_f32 v3, v3, v8 :: v_dual_add_f32 v2, v2, v7
	s_delay_alu instid0(VALU_DEP_2) | instskip(NEXT) | instid1(VALU_DEP_2)
	v_dual_mul_f32 v8, 0.5, v9 :: v_dual_mul_f32 v9, 0.5, v10
	v_mul_f32_e32 v3, 0.5, v3
	s_wait_loadcnt 0x1
	s_delay_alu instid0(VALU_DEP_2) | instskip(NEXT) | instid1(VALU_DEP_2)
	v_mul_f32_e32 v7, v5, v8
	v_fma_f32 v10, v9, v5, v3
	v_fma_f32 v3, v9, v5, -v3
	s_delay_alu instid0(VALU_DEP_3) | instskip(SKIP_1) | instid1(VALU_DEP_4)
	v_fma_f32 v5, 0.5, v2, v7
	v_fma_f32 v2, v2, 0.5, -v7
	v_fma_f32 v7, -v4, v8, v10
	s_delay_alu instid0(VALU_DEP_4) | instskip(NEXT) | instid1(VALU_DEP_4)
	v_fma_f32 v3, -v4, v8, v3
	v_fmac_f32_e32 v5, v4, v9
	s_delay_alu instid0(VALU_DEP_4)
	v_fma_f32 v2, -v4, v9, v2
	ds_store_2addr_b32 v18, v5, v7 offset0:28 offset1:29
	ds_store_b64 v6, v[2:3] offset:560
	ds_load_b64 v[2:3], v18 offset:224
	ds_load_b64 v[4:5], v6 offset:448
	s_wait_dscnt 0x0
	v_dual_add_f32 v8, v3, v5 :: v_dual_sub_f32 v7, v2, v4
	v_dual_sub_f32 v3, v3, v5 :: v_dual_add_f32 v2, v2, v4
	s_delay_alu instid0(VALU_DEP_2) | instskip(NEXT) | instid1(VALU_DEP_3)
	v_mul_f32_e32 v5, 0.5, v7
	v_mul_f32_e32 v7, 0.5, v8
	s_wait_loadcnt 0x0
	s_delay_alu instid0(VALU_DEP_2) | instskip(NEXT) | instid1(VALU_DEP_1)
	v_dual_mul_f32 v3, 0.5, v3 :: v_dual_mul_f32 v4, v1, v5
	v_fma_f32 v8, v7, v1, v3
	v_fma_f32 v1, v7, v1, -v3
	s_delay_alu instid0(VALU_DEP_3) | instskip(SKIP_1) | instid1(VALU_DEP_4)
	v_fma_f32 v3, 0.5, v2, v4
	v_fma_f32 v2, v2, 0.5, -v4
	v_fma_f32 v4, -v0, v5, v8
	s_delay_alu instid0(VALU_DEP_4) | instskip(NEXT) | instid1(VALU_DEP_4)
	v_fma_f32 v1, -v0, v5, v1
	v_fmac_f32_e32 v3, v0, v7
	s_delay_alu instid0(VALU_DEP_4)
	v_fma_f32 v0, -v0, v7, v2
	ds_store_2addr_b32 v18, v3, v4 offset0:56 offset1:57
	ds_store_b64 v6, v[0:1] offset:448
	global_wb scope:SCOPE_SE
	s_wait_dscnt 0x0
	s_barrier_signal -1
	s_barrier_wait -1
	global_inv scope:SCOPE_SE
	s_and_saveexec_b32 s2, vcc_lo
	s_cbranch_execz .LBB0_13
; %bb.11:
	v_mad_co_u64_u32 v[0:1], null, s6, v14, 0
	s_load_b64 s[0:1], s[0:1], 0x58
	v_dual_mov_b32 v13, 0 :: v_dual_add_nc_u32 v28, 0x46, v12
	s_delay_alu instid0(VALU_DEP_2) | instskip(SKIP_1) | instid1(VALU_DEP_3)
	v_mad_co_u64_u32 v[1:2], null, s7, v14, v[1:2]
	v_add_nc_u32_e32 v14, 14, v12
	v_dual_mov_b32 v15, v13 :: v_dual_add_nc_u32 v16, 28, v12
	v_lshlrev_b64_e32 v[22:23], 3, v[12:13]
	v_lshl_add_u32 v2, v12, 3, v17
	v_dual_mov_b32 v17, v13 :: v_dual_add_nc_u32 v18, 42, v12
	v_lshlrev_b64_e32 v[0:1], 3, v[0:1]
	v_lshlrev_b64_e32 v[14:15], 3, v[14:15]
	v_dual_mov_b32 v19, v13 :: v_dual_add_nc_u32 v20, 56, v12
	s_delay_alu instid0(VALU_DEP_4)
	v_lshlrev_b64_e32 v[16:17], 3, v[16:17]
	v_mov_b32_e32 v21, v13
	s_wait_kmcnt 0x0
	v_add_co_u32 v0, vcc_lo, s0, v0
	v_add_co_ci_u32_e32 v1, vcc_lo, s1, v1, vcc_lo
	ds_load_2addr_b64 v[3:6], v2 offset1:14
	v_add_co_u32 v22, vcc_lo, v0, v22
	s_wait_alu 0xfffd
	v_add_co_ci_u32_e32 v23, vcc_lo, v1, v23, vcc_lo
	v_add_co_u32 v24, vcc_lo, v0, v14
	v_lshlrev_b64_e32 v[18:19], 3, v[18:19]
	s_wait_alu 0xfffd
	v_add_co_ci_u32_e32 v25, vcc_lo, v1, v15, vcc_lo
	v_mov_b32_e32 v29, v13
	ds_load_2addr_b64 v[7:10], v2 offset0:28 offset1:42
	v_add_co_u32 v26, vcc_lo, v0, v16
	v_lshlrev_b64_e32 v[20:21], 3, v[20:21]
	s_wait_alu 0xfffd
	v_add_co_ci_u32_e32 v27, vcc_lo, v1, v17, vcc_lo
	ds_load_2addr_b64 v[14:17], v2 offset0:56 offset1:70
	v_add_co_u32 v18, vcc_lo, v0, v18
	v_lshlrev_b64_e32 v[28:29], 3, v[28:29]
	s_wait_alu 0xfffd
	v_add_co_ci_u32_e32 v19, vcc_lo, v1, v19, vcc_lo
	v_add_co_u32 v20, vcc_lo, v0, v20
	s_wait_alu 0xfffd
	v_add_co_ci_u32_e32 v21, vcc_lo, v1, v21, vcc_lo
	v_add_co_u32 v28, vcc_lo, v0, v28
	s_wait_alu 0xfffd
	v_add_co_ci_u32_e32 v29, vcc_lo, v1, v29, vcc_lo
	v_cmp_eq_u32_e32 vcc_lo, 13, v12
	s_wait_dscnt 0x2
	s_clause 0x1
	global_store_b64 v[22:23], v[3:4], off
	global_store_b64 v[24:25], v[5:6], off
	s_wait_dscnt 0x1
	s_clause 0x1
	global_store_b64 v[26:27], v[7:8], off
	global_store_b64 v[18:19], v[9:10], off
	;; [unrolled: 4-line block ×3, first 2 shown]
	s_and_b32 exec_lo, exec_lo, vcc_lo
	s_cbranch_execz .LBB0_13
; %bb.12:
	ds_load_b64 v[2:3], v2 offset:568
	s_wait_dscnt 0x0
	global_store_b64 v[0:1], v[2:3], off offset:672
.LBB0_13:
	s_nop 0
	s_sendmsg sendmsg(MSG_DEALLOC_VGPRS)
	s_endpgm
	.section	.rodata,"a",@progbits
	.p2align	6, 0x0
	.amdhsa_kernel fft_rtc_back_len84_factors_7_6_2_wgs_252_tpt_14_dim1_sp_op_CI_CI_unitstride_sbrr_R2C_dirReg
		.amdhsa_group_segment_fixed_size 0
		.amdhsa_private_segment_fixed_size 0
		.amdhsa_kernarg_size 96
		.amdhsa_user_sgpr_count 2
		.amdhsa_user_sgpr_dispatch_ptr 0
		.amdhsa_user_sgpr_queue_ptr 0
		.amdhsa_user_sgpr_kernarg_segment_ptr 1
		.amdhsa_user_sgpr_dispatch_id 0
		.amdhsa_user_sgpr_private_segment_size 0
		.amdhsa_wavefront_size32 1
		.amdhsa_uses_dynamic_stack 0
		.amdhsa_enable_private_segment 0
		.amdhsa_system_sgpr_workgroup_id_x 1
		.amdhsa_system_sgpr_workgroup_id_y 0
		.amdhsa_system_sgpr_workgroup_id_z 0
		.amdhsa_system_sgpr_workgroup_info 0
		.amdhsa_system_vgpr_workitem_id 0
		.amdhsa_next_free_vgpr 40
		.amdhsa_next_free_sgpr 10
		.amdhsa_reserve_vcc 1
		.amdhsa_float_round_mode_32 0
		.amdhsa_float_round_mode_16_64 0
		.amdhsa_float_denorm_mode_32 3
		.amdhsa_float_denorm_mode_16_64 3
		.amdhsa_fp16_overflow 0
		.amdhsa_workgroup_processor_mode 1
		.amdhsa_memory_ordered 1
		.amdhsa_forward_progress 0
		.amdhsa_round_robin_scheduling 0
		.amdhsa_exception_fp_ieee_invalid_op 0
		.amdhsa_exception_fp_denorm_src 0
		.amdhsa_exception_fp_ieee_div_zero 0
		.amdhsa_exception_fp_ieee_overflow 0
		.amdhsa_exception_fp_ieee_underflow 0
		.amdhsa_exception_fp_ieee_inexact 0
		.amdhsa_exception_int_div_zero 0
	.end_amdhsa_kernel
	.text
.Lfunc_end0:
	.size	fft_rtc_back_len84_factors_7_6_2_wgs_252_tpt_14_dim1_sp_op_CI_CI_unitstride_sbrr_R2C_dirReg, .Lfunc_end0-fft_rtc_back_len84_factors_7_6_2_wgs_252_tpt_14_dim1_sp_op_CI_CI_unitstride_sbrr_R2C_dirReg
                                        ; -- End function
	.section	.AMDGPU.csdata,"",@progbits
; Kernel info:
; codeLenInByte = 3328
; NumSgprs: 12
; NumVgprs: 40
; ScratchSize: 0
; MemoryBound: 0
; FloatMode: 240
; IeeeMode: 1
; LDSByteSize: 0 bytes/workgroup (compile time only)
; SGPRBlocks: 1
; VGPRBlocks: 4
; NumSGPRsForWavesPerEU: 12
; NumVGPRsForWavesPerEU: 40
; Occupancy: 16
; WaveLimiterHint : 1
; COMPUTE_PGM_RSRC2:SCRATCH_EN: 0
; COMPUTE_PGM_RSRC2:USER_SGPR: 2
; COMPUTE_PGM_RSRC2:TRAP_HANDLER: 0
; COMPUTE_PGM_RSRC2:TGID_X_EN: 1
; COMPUTE_PGM_RSRC2:TGID_Y_EN: 0
; COMPUTE_PGM_RSRC2:TGID_Z_EN: 0
; COMPUTE_PGM_RSRC2:TIDIG_COMP_CNT: 0
	.text
	.p2alignl 7, 3214868480
	.fill 96, 4, 3214868480
	.type	__hip_cuid_ee1e85274e1e15e5,@object ; @__hip_cuid_ee1e85274e1e15e5
	.section	.bss,"aw",@nobits
	.globl	__hip_cuid_ee1e85274e1e15e5
__hip_cuid_ee1e85274e1e15e5:
	.byte	0                               ; 0x0
	.size	__hip_cuid_ee1e85274e1e15e5, 1

	.ident	"AMD clang version 19.0.0git (https://github.com/RadeonOpenCompute/llvm-project roc-6.4.0 25133 c7fe45cf4b819c5991fe208aaa96edf142730f1d)"
	.section	".note.GNU-stack","",@progbits
	.addrsig
	.addrsig_sym __hip_cuid_ee1e85274e1e15e5
	.amdgpu_metadata
---
amdhsa.kernels:
  - .args:
      - .actual_access:  read_only
        .address_space:  global
        .offset:         0
        .size:           8
        .value_kind:     global_buffer
      - .actual_access:  read_only
        .address_space:  global
        .offset:         8
        .size:           8
        .value_kind:     global_buffer
      - .actual_access:  read_only
        .address_space:  global
        .offset:         16
        .size:           8
        .value_kind:     global_buffer
      - .actual_access:  read_only
        .address_space:  global
        .offset:         24
        .size:           8
        .value_kind:     global_buffer
      - .offset:         32
        .size:           8
        .value_kind:     by_value
      - .actual_access:  read_only
        .address_space:  global
        .offset:         40
        .size:           8
        .value_kind:     global_buffer
      - .actual_access:  read_only
        .address_space:  global
        .offset:         48
        .size:           8
        .value_kind:     global_buffer
      - .offset:         56
        .size:           4
        .value_kind:     by_value
      - .actual_access:  read_only
        .address_space:  global
        .offset:         64
        .size:           8
        .value_kind:     global_buffer
      - .actual_access:  read_only
        .address_space:  global
        .offset:         72
        .size:           8
        .value_kind:     global_buffer
      - .actual_access:  read_only
        .address_space:  global
        .offset:         80
        .size:           8
        .value_kind:     global_buffer
      - .actual_access:  write_only
        .address_space:  global
        .offset:         88
        .size:           8
        .value_kind:     global_buffer
    .group_segment_fixed_size: 0
    .kernarg_segment_align: 8
    .kernarg_segment_size: 96
    .language:       OpenCL C
    .language_version:
      - 2
      - 0
    .max_flat_workgroup_size: 252
    .name:           fft_rtc_back_len84_factors_7_6_2_wgs_252_tpt_14_dim1_sp_op_CI_CI_unitstride_sbrr_R2C_dirReg
    .private_segment_fixed_size: 0
    .sgpr_count:     12
    .sgpr_spill_count: 0
    .symbol:         fft_rtc_back_len84_factors_7_6_2_wgs_252_tpt_14_dim1_sp_op_CI_CI_unitstride_sbrr_R2C_dirReg.kd
    .uniform_work_group_size: 1
    .uses_dynamic_stack: false
    .vgpr_count:     40
    .vgpr_spill_count: 0
    .wavefront_size: 32
    .workgroup_processor_mode: 1
amdhsa.target:   amdgcn-amd-amdhsa--gfx1201
amdhsa.version:
  - 1
  - 2
...

	.end_amdgpu_metadata
